;; amdgpu-corpus repo=ROCm/rocFFT kind=compiled arch=gfx950 opt=O3
	.text
	.amdgcn_target "amdgcn-amd-amdhsa--gfx950"
	.amdhsa_code_object_version 6
	.protected	bluestein_single_fwd_len88_dim1_dp_op_CI_CI ; -- Begin function bluestein_single_fwd_len88_dim1_dp_op_CI_CI
	.globl	bluestein_single_fwd_len88_dim1_dp_op_CI_CI
	.p2align	8
	.type	bluestein_single_fwd_len88_dim1_dp_op_CI_CI,@function
bluestein_single_fwd_len88_dim1_dp_op_CI_CI: ; @bluestein_single_fwd_len88_dim1_dp_op_CI_CI
; %bb.0:
	s_load_dwordx4 s[8:11], s[0:1], 0x28
	v_mul_u32_u24_e32 v1, 0x1746, v0
	v_lshrrev_b32_e32 v2, 16, v1
	v_mad_u64_u32 v[88:89], s[2:3], s2, 11, v[2:3]
	v_mov_b32_e32 v89, 0
	s_waitcnt lgkmcnt(0)
	v_cmp_gt_u64_e32 vcc, s[8:9], v[88:89]
	s_and_saveexec_b64 s[2:3], vcc
	s_cbranch_execz .LBB0_15
; %bb.1:
	v_mul_lo_u16_e32 v1, 11, v2
	s_mov_b32 s2, 0xba2e8ba3
	v_sub_u16_e32 v89, v0, v1
	v_mul_hi_u32 v0, v88, s2
	v_lshrrev_b32_e32 v0, 3, v0
	s_load_dwordx2 s[8:9], s[0:1], 0x0
	s_load_dwordx2 s[12:13], s[0:1], 0x38
	v_mul_lo_u32 v0, v0, 11
	v_sub_u32_e32 v0, v88, v0
	v_mul_u32_u24_e32 v170, 0x58, v0
	v_or_b32_e32 v0, v170, v89
	v_cmp_gt_u16_e32 vcc, 8, v89
	v_lshlrev_b32_e32 v162, 4, v89
	v_lshlrev_b32_e32 v167, 4, v0
	v_or_b32_e32 v164, 8, v89
	v_or_b32_e32 v165, 16, v89
	;; [unrolled: 1-line block ×8, first 2 shown]
	s_and_saveexec_b64 s[2:3], vcc
	s_cbranch_execz .LBB0_3
; %bb.2:
	s_load_dwordx2 s[4:5], s[0:1], 0x18
	v_mov_b32_e32 v0, s10
	v_mov_b32_e32 v1, s11
	s_waitcnt lgkmcnt(0)
	s_load_dwordx4 s[4:7], s[4:5], 0x0
	s_waitcnt lgkmcnt(0)
	v_mad_u64_u32 v[2:3], s[10:11], s6, v88, 0
	v_mov_b32_e32 v6, v3
	v_mad_u64_u32 v[6:7], s[6:7], s7, v88, v[6:7]
	v_mad_u64_u32 v[4:5], s[10:11], s4, v89, 0
	v_mov_b32_e32 v3, v6
	v_mov_b32_e32 v8, v5
	v_lshl_add_u64 v[36:37], v[2:3], 4, v[0:1]
	v_mad_u64_u32 v[0:1], s[6:7], s4, v164, 0
	v_mad_u64_u32 v[6:7], s[6:7], s5, v89, v[8:9]
	v_mov_b32_e32 v2, v1
	v_mov_b32_e32 v5, v6
	v_mad_u64_u32 v[2:3], s[6:7], s5, v164, v[2:3]
	v_lshl_add_u64 v[38:39], v[4:5], 4, v[36:37]
	v_mov_b32_e32 v1, v2
	v_lshl_add_u64 v[44:45], v[0:1], 4, v[36:37]
	global_load_dwordx4 v[0:3], v162, s[8:9]
	global_load_dwordx4 v[4:7], v162, s[8:9] offset:128
	global_load_dwordx4 v[12:15], v[38:39], off
	global_load_dwordx4 v[8:11], v[44:45], off
	global_load_dwordx4 v[16:19], v162, s[8:9] offset:256
	global_load_dwordx4 v[20:23], v162, s[8:9] offset:384
	;; [unrolled: 1-line block ×6, first 2 shown]
	v_mad_u64_u32 v[38:39], s[6:7], s4, v165, 0
	v_mov_b32_e32 v44, v39
	v_mad_u64_u32 v[44:45], s[6:7], s5, v165, v[44:45]
	v_mad_u64_u32 v[48:49], s[6:7], s4, v166, 0
	v_mov_b32_e32 v39, v44
	v_mov_b32_e32 v46, v49
	v_lshl_add_u64 v[38:39], v[38:39], 4, v[36:37]
	v_mad_u64_u32 v[52:53], s[6:7], s4, v163, 0
	v_mad_u64_u32 v[56:57], s[6:7], s4, v161, 0
	;; [unrolled: 1-line block ×5, first 2 shown]
	global_load_dwordx4 v[44:47], v[38:39], off
	v_mad_u64_u32 v[62:63], s[6:7], s4, v158, 0
	v_mov_b32_e32 v50, v53
	v_mov_b32_e32 v54, v57
	;; [unrolled: 1-line block ×6, first 2 shown]
	v_mad_u64_u32 v[50:51], s[6:7], s5, v163, v[50:51]
	v_mad_u64_u32 v[54:55], s[6:7], s5, v161, v[54:55]
	;; [unrolled: 1-line block ×4, first 2 shown]
	v_lshl_add_u64 v[48:49], v[48:49], 4, v[36:37]
	v_mov_b32_e32 v53, v50
	global_load_dwordx4 v[48:51], v[48:49], off
	v_mad_u64_u32 v[38:39], s[6:7], s5, v158, v[68:69]
	v_mov_b32_e32 v57, v54
	v_mov_b32_e32 v59, v64
	;; [unrolled: 1-line block ×3, first 2 shown]
	v_lshl_add_u64 v[52:53], v[52:53], 4, v[36:37]
	v_mov_b32_e32 v63, v38
	v_lshl_add_u64 v[38:39], v[56:57], 4, v[36:37]
	v_lshl_add_u64 v[68:69], v[58:59], 4, v[36:37]
	;; [unrolled: 1-line block ×3, first 2 shown]
	global_load_dwordx4 v[52:55], v[52:53], off
	s_waitcnt vmcnt(10)
	v_mul_f64 v[92:93], v[12:13], v[2:3]
	global_load_dwordx4 v[56:59], v[38:39], off
	v_lshl_add_u64 v[38:39], v[62:63], 4, v[36:37]
	global_load_dwordx4 v[60:63], v[68:69], off
	global_load_dwordx4 v[64:67], v[70:71], off
	v_or_b32_e32 v71, 0x48, v89
	v_mad_u64_u32 v[68:69], s[6:7], s4, v71, 0
	v_mov_b32_e32 v70, v69
	v_mad_u64_u32 v[70:71], s[6:7], s5, v71, v[70:71]
	v_mov_b32_e32 v69, v70
	v_lshl_add_u64 v[84:85], v[68:69], 4, v[36:37]
	global_load_dwordx4 v[68:71], v[38:39], off
	global_load_dwordx4 v[72:75], v[84:85], off
	global_load_dwordx4 v[76:79], v162, s[8:9] offset:1024
	global_load_dwordx4 v[80:83], v162, s[8:9] offset:1152
	v_or_b32_e32 v85, 0x50, v89
	v_mad_u64_u32 v[38:39], s[6:7], s4, v85, 0
	v_mov_b32_e32 v84, v39
	v_mad_u64_u32 v[84:85], s[4:5], s5, v85, v[84:85]
	v_mov_b32_e32 v39, v84
	v_lshl_add_u64 v[90:91], v[38:39], 4, v[36:37]
	global_load_dwordx4 v[36:39], v[90:91], off
	global_load_dwordx4 v[84:87], v162, s[8:9] offset:1280
	v_mul_f64 v[90:91], v[14:15], v[2:3]
	s_waitcnt vmcnt(18)
	v_mul_f64 v[2:3], v[10:11], v[6:7]
	v_mul_f64 v[6:7], v[8:9], v[6:7]
	v_fma_f64 v[92:93], v[14:15], v[0:1], -v[92:93]
	v_fmac_f64_e32 v[90:91], v[12:13], v[0:1]
	v_fmac_f64_e32 v[2:3], v[8:9], v[4:5]
	v_fma_f64 v[4:5], v[10:11], v[4:5], -v[6:7]
	v_lshl_add_u32 v6, v170, 4, v162
	s_waitcnt vmcnt(11)
	v_mul_f64 v[0:1], v[44:45], v[18:19]
	ds_write_b128 v167, v[90:93]
	ds_write_b128 v6, v[2:5] offset:128
	v_fma_f64 v[2:3], v[46:47], v[16:17], -v[0:1]
	v_mul_f64 v[0:1], v[46:47], v[18:19]
	v_fmac_f64_e32 v[0:1], v[44:45], v[16:17]
	ds_write_b128 v6, v[0:3] offset:256
	s_waitcnt vmcnt(10)
	v_mul_f64 v[0:1], v[50:51], v[22:23]
	v_mul_f64 v[2:3], v[48:49], v[22:23]
	v_fmac_f64_e32 v[0:1], v[48:49], v[20:21]
	v_fma_f64 v[2:3], v[50:51], v[20:21], -v[2:3]
	ds_write_b128 v6, v[0:3] offset:384
	s_waitcnt vmcnt(9)
	v_mul_f64 v[0:1], v[54:55], v[26:27]
	v_mul_f64 v[2:3], v[52:53], v[26:27]
	v_fmac_f64_e32 v[0:1], v[52:53], v[24:25]
	v_fma_f64 v[2:3], v[54:55], v[24:25], -v[2:3]
	;; [unrolled: 6-line block ×8, first 2 shown]
	ds_write_b128 v6, v[0:3] offset:1280
.LBB0_3:
	s_or_b64 exec, exec, s[2:3]
	s_load_dwordx2 s[2:3], s[0:1], 0x20
	s_load_dwordx2 s[4:5], s[0:1], 0x8
	v_lshlrev_b32_e32 v168, 4, v170
	s_waitcnt lgkmcnt(0)
	s_barrier
	s_waitcnt lgkmcnt(0)
                                        ; implicit-def: $vgpr12_vgpr13
                                        ; implicit-def: $vgpr16_vgpr17
                                        ; implicit-def: $vgpr28_vgpr29
                                        ; implicit-def: $vgpr40_vgpr41
                                        ; implicit-def: $vgpr44_vgpr45
                                        ; implicit-def: $vgpr48_vgpr49
                                        ; implicit-def: $vgpr52_vgpr53
                                        ; implicit-def: $vgpr36_vgpr37
                                        ; implicit-def: $vgpr32_vgpr33
                                        ; implicit-def: $vgpr24_vgpr25
                                        ; implicit-def: $vgpr20_vgpr21
	s_and_saveexec_b64 s[0:1], vcc
	s_cbranch_execz .LBB0_5
; %bb.4:
	v_lshl_add_u32 v0, v89, 4, v168
	ds_read_b128 v[12:15], v167
	ds_read_b128 v[20:23], v0 offset:128
	ds_read_b128 v[16:19], v0 offset:256
	;; [unrolled: 1-line block ×10, first 2 shown]
.LBB0_5:
	s_or_b64 exec, exec, s[0:1]
	s_mov_b32 s6, 0xf8bb580b
	s_waitcnt lgkmcnt(0)
	v_add_f64 v[70:71], v[22:23], -v[54:55]
	s_mov_b32 s0, 0x8764f0ba
	s_mov_b32 s7, 0xbfe14ced
	;; [unrolled: 1-line block ×3, first 2 shown]
	v_add_f64 v[64:65], v[52:53], v[20:21]
	v_add_f64 v[66:67], v[20:21], -v[52:53]
	s_mov_b32 s1, 0x3feaeb8c
	v_mul_f64 v[56:57], v[70:71], s[6:7]
	s_mov_b32 s10, 0xd9c712b6
	s_mov_b32 s21, 0xbfed1bb4
	v_add_f64 v[84:85], v[18:19], -v[50:51]
	v_add_f64 v[74:75], v[54:55], v[22:23]
	v_mul_f64 v[58:59], v[66:67], s[6:7]
	v_fma_f64 v[0:1], s[0:1], v[64:65], v[56:57]
	s_mov_b32 s11, 0x3fda9628
	s_mov_b32 s24, 0x43842ef
	v_add_f64 v[76:77], v[16:17], v[48:49]
	v_add_f64 v[80:81], v[16:17], -v[48:49]
	v_mul_f64 v[60:61], v[84:85], s[20:21]
	v_add_f64 v[0:1], v[12:13], v[0:1]
	v_fma_f64 v[2:3], v[74:75], s[0:1], -v[58:59]
	s_mov_b32 s14, 0x640f44db
	s_mov_b32 s25, 0xbfefac9e
	v_add_f64 v[92:93], v[18:19], v[50:51]
	v_mul_f64 v[62:63], v[80:81], s[20:21]
	v_fma_f64 v[4:5], s[10:11], v[76:77], v[60:61]
	v_add_f64 v[104:105], v[26:27], -v[46:47]
	v_add_f64 v[2:3], v[14:15], v[2:3]
	s_mov_b32 s15, 0xbfc2375f
	v_add_f64 v[0:1], v[4:5], v[0:1]
	v_fma_f64 v[4:5], v[92:93], s[10:11], -v[62:63]
	s_mov_b32 s22, 0xbb3a28a1
	v_add_f64 v[90:91], v[44:45], v[24:25]
	v_add_f64 v[96:97], v[24:25], -v[44:45]
	v_mul_f64 v[68:69], v[104:105], s[24:25]
	v_add_f64 v[2:3], v[4:5], v[2:3]
	s_mov_b32 s16, 0x7f775887
	s_mov_b32 s23, 0xbfe82f19
	v_add_f64 v[114:115], v[46:47], v[26:27]
	v_mul_f64 v[72:73], v[96:97], s[24:25]
	v_fma_f64 v[4:5], s[14:15], v[90:91], v[68:69]
	v_add_f64 v[124:125], v[34:35], -v[42:43]
	s_mov_b32 s17, 0xbfe4f49e
	v_add_f64 v[0:1], v[4:5], v[0:1]
	v_fma_f64 v[4:5], v[114:115], s[14:15], -v[72:73]
	v_add_f64 v[100:101], v[40:41], v[32:33]
	v_mul_f64 v[78:79], v[124:125], s[22:23]
	v_add_f64 v[116:117], v[32:33], -v[40:41]
	s_mov_b32 s30, 0xfd768dbf
	v_add_f64 v[2:3], v[4:5], v[2:3]
	v_fma_f64 v[4:5], s[16:17], v[100:101], v[78:79]
	v_add_f64 v[132:133], v[42:43], v[34:35]
	v_mul_f64 v[82:83], v[116:117], s[22:23]
	s_mov_b32 s26, 0x9bcd5057
	s_mov_b32 s31, 0x3fd207e7
	;; [unrolled: 1-line block ×4, first 2 shown]
	v_add_f64 v[138:139], v[30:31], -v[38:39]
	v_add_f64 v[0:1], v[4:5], v[0:1]
	v_fma_f64 v[4:5], v[132:133], s[16:17], -v[82:83]
	s_mov_b32 s27, 0xbfeeb42a
	v_add_f64 v[126:127], v[28:29], v[36:37]
	v_mul_f64 v[86:87], v[138:139], s[28:29]
	v_add_f64 v[136:137], v[28:29], -v[36:37]
	v_add_f64 v[2:3], v[4:5], v[2:3]
	v_fma_f64 v[4:5], s[26:27], v[126:127], v[86:87]
	v_add_f64 v[154:155], v[30:31], v[38:39]
	v_mul_f64 v[94:95], v[136:137], s[28:29]
	v_add_f64 v[0:1], v[4:5], v[0:1]
	v_fma_f64 v[4:5], v[154:155], s[26:27], -v[94:95]
	v_mul_f64 v[98:99], v[70:71], s[20:21]
	v_add_f64 v[2:3], v[4:5], v[2:3]
	v_fma_f64 v[4:5], s[10:11], v[64:65], v[98:99]
	v_mul_f64 v[102:103], v[84:85], s[22:23]
	v_add_f64 v[4:5], v[12:13], v[4:5]
	v_fma_f64 v[6:7], s[16:17], v[76:77], v[102:103]
	v_mul_f64 v[108:109], v[66:67], s[20:21]
	v_add_f64 v[4:5], v[6:7], v[4:5]
	v_fma_f64 v[6:7], v[74:75], s[10:11], -v[108:109]
	v_mul_f64 v[110:111], v[80:81], s[22:23]
	v_add_f64 v[6:7], v[14:15], v[6:7]
	v_fma_f64 v[8:9], v[92:93], s[16:17], -v[110:111]
	v_mul_f64 v[106:107], v[104:105], s[30:31]
	v_add_f64 v[6:7], v[8:9], v[6:7]
	v_fma_f64 v[8:9], s[26:27], v[90:91], v[106:107]
	v_mul_f64 v[118:119], v[96:97], s[30:31]
	s_mov_b32 s35, 0x3fefac9e
	s_mov_b32 s34, s24
	v_add_f64 v[4:5], v[8:9], v[4:5]
	v_fma_f64 v[8:9], v[114:115], s[26:27], -v[118:119]
	v_mul_f64 v[112:113], v[124:125], s[34:35]
	v_add_f64 v[6:7], v[8:9], v[6:7]
	v_fma_f64 v[8:9], s[14:15], v[100:101], v[112:113]
	v_mul_f64 v[122:123], v[116:117], s[34:35]
	s_mov_b32 s39, 0x3fe14ced
	s_mov_b32 s38, s6
	v_add_f64 v[4:5], v[8:9], v[4:5]
	v_fma_f64 v[8:9], v[132:133], s[14:15], -v[122:123]
	v_mul_f64 v[120:121], v[138:139], s[38:39]
	v_add_f64 v[6:7], v[8:9], v[6:7]
	v_fma_f64 v[8:9], s[0:1], v[126:127], v[120:121]
	v_mul_f64 v[128:129], v[136:137], s[38:39]
	v_add_f64 v[4:5], v[8:9], v[4:5]
	v_fma_f64 v[8:9], v[154:155], s[0:1], -v[128:129]
	v_mul_f64 v[130:131], v[70:71], s[24:25]
	v_add_f64 v[6:7], v[8:9], v[6:7]
	v_fma_f64 v[8:9], s[14:15], v[64:65], v[130:131]
	v_mul_f64 v[134:135], v[84:85], s[30:31]
	v_add_f64 v[8:9], v[12:13], v[8:9]
	v_fma_f64 v[10:11], s[26:27], v[76:77], v[134:135]
	v_mul_f64 v[142:143], v[66:67], s[24:25]
	v_add_f64 v[8:9], v[10:11], v[8:9]
	v_fma_f64 v[10:11], v[74:75], s[14:15], -v[142:143]
	v_mul_f64 v[144:145], v[80:81], s[30:31]
	v_add_f64 v[10:11], v[14:15], v[10:11]
	v_fma_f64 v[140:141], v[92:93], s[26:27], -v[144:145]
	s_mov_b32 s37, 0x3fed1bb4
	s_mov_b32 s36, s20
	v_add_f64 v[10:11], v[140:141], v[10:11]
	v_mul_f64 v[140:141], v[104:105], s[36:37]
	v_fma_f64 v[146:147], s[10:11], v[90:91], v[140:141]
	v_mul_f64 v[150:151], v[96:97], s[36:37]
	v_add_f64 v[8:9], v[146:147], v[8:9]
	v_fma_f64 v[146:147], v[114:115], s[10:11], -v[150:151]
	v_add_f64 v[10:11], v[146:147], v[10:11]
	v_mul_f64 v[146:147], v[124:125], s[6:7]
	v_fma_f64 v[148:149], s[0:1], v[100:101], v[146:147]
	v_mul_f64 v[152:153], v[116:117], s[6:7]
	v_add_f64 v[8:9], v[148:149], v[8:9]
	v_fma_f64 v[148:149], v[132:133], s[0:1], -v[152:153]
	v_add_f64 v[10:11], v[148:149], v[10:11]
	v_mul_f64 v[148:149], v[138:139], s[22:23]
	v_fma_f64 v[156:157], s[16:17], v[126:127], v[148:149]
	v_add_f64 v[8:9], v[156:157], v[8:9]
	v_mul_f64 v[156:157], v[136:137], s[22:23]
	v_fma_f64 v[172:173], v[154:155], s[16:17], -v[156:157]
	v_add_f64 v[10:11], v[172:173], v[10:11]
	v_mul_lo_u16_e32 v169, 11, v89
	s_barrier
	s_and_saveexec_b64 s[18:19], vcc
	s_cbranch_execz .LBB0_7
; %bb.6:
	v_mul_f64 v[246:247], v[74:75], s[26:27]
	v_mul_f64 v[242:243], v[92:93], s[0:1]
	v_fma_f64 v[248:249], s[30:31], v[66:67], v[246:247]
	v_mul_f64 v[180:181], v[114:115], s[16:17]
	s_mov_b32 s41, 0x3fe82f19
	s_mov_b32 s40, s22
	v_fma_f64 v[244:245], s[6:7], v[80:81], v[242:243]
	v_add_f64 v[248:249], v[14:15], v[248:249]
	v_mul_f64 v[178:179], v[132:133], s[10:11]
	v_fma_f64 v[182:183], s[40:41], v[96:97], v[180:181]
	v_add_f64 v[244:245], v[244:245], v[248:249]
	v_mul_f64 v[176:177], v[154:155], s[14:15]
	;; [unrolled: 3-line block ×3, first 2 shown]
	v_fmac_f64_e32 v[246:247], s[28:29], v[66:67]
	v_fma_f64 v[172:173], s[34:35], v[136:137], v[176:177]
	v_add_f64 v[174:175], v[174:175], v[182:183]
	v_mul_f64 v[250:251], v[84:85], s[38:39]
	v_fma_f64 v[254:255], s[26:27], v[64:65], v[252:253]
	v_fmac_f64_e32 v[242:243], s[38:39], v[80:81]
	v_add_f64 v[246:247], v[14:15], v[246:247]
	v_add_f64 v[174:175], v[172:173], v[174:175]
	v_mul_f64 v[248:249], v[104:105], s[22:23]
	v_fma_f64 v[172:173], s[0:1], v[76:77], v[250:251]
	v_add_f64 v[254:255], v[12:13], v[254:255]
	v_fmac_f64_e32 v[180:181], s[22:23], v[96:97]
	v_add_f64 v[242:243], v[242:243], v[246:247]
	v_mul_f64 v[244:245], v[124:125], s[36:37]
	v_add_f64 v[172:173], v[172:173], v[254:255]
	v_fma_f64 v[254:255], s[16:17], v[90:91], v[248:249]
	v_fmac_f64_e32 v[178:179], s[36:37], v[116:117]
	v_add_f64 v[180:181], v[180:181], v[242:243]
	v_mul_f64 v[186:187], v[74:75], s[0:1]
	v_mul_f64 v[190:191], v[74:75], s[10:11]
	;; [unrolled: 1-line block ×3, first 2 shown]
	v_add_f64 v[172:173], v[254:255], v[172:173]
	v_fma_f64 v[254:255], s[10:11], v[100:101], v[244:245]
	v_add_f64 v[178:179], v[178:179], v[180:181]
	v_fma_f64 v[180:181], v[100:101], s[10:11], -v[244:245]
	v_fma_f64 v[244:245], v[64:65], s[26:27], -v[252:253]
	v_mul_f64 v[74:75], v[74:75], s[16:17]
	v_mul_f64 v[198:199], v[92:93], s[10:11]
	;; [unrolled: 1-line block ×5, first 2 shown]
	v_fmac_f64_e32 v[176:177], s[24:25], v[136:137]
	v_fma_f64 v[242:243], v[76:77], s[0:1], -v[250:251]
	v_add_f64 v[244:245], v[12:13], v[244:245]
	v_mul_f64 v[92:93], v[92:93], s[14:15]
	v_fma_f64 v[246:247], s[40:41], v[66:67], v[74:75]
	v_mul_f64 v[70:71], v[70:71], s[22:23]
	v_mul_f64 v[184:185], v[64:65], s[0:1]
	;; [unrolled: 1-line block ×7, first 2 shown]
	v_add_f64 v[172:173], v[254:255], v[172:173]
	v_fma_f64 v[254:255], s[14:15], v[126:127], v[182:183]
	v_add_f64 v[178:179], v[176:177], v[178:179]
	v_fma_f64 v[176:177], v[126:127], s[14:15], -v[182:183]
	v_fma_f64 v[182:183], v[90:91], s[16:17], -v[248:249]
	v_add_f64 v[242:243], v[242:243], v[244:245]
	v_mul_f64 v[114:115], v[114:115], s[0:1]
	v_fma_f64 v[244:245], s[24:25], v[80:81], v[92:93]
	v_add_f64 v[246:247], v[14:15], v[246:247]
	v_mul_f64 v[84:85], v[84:85], s[34:35]
	v_fma_f64 v[248:249], s[16:17], v[64:65], v[70:71]
	v_fma_f64 v[64:65], v[64:65], s[16:17], -v[70:71]
	v_mul_f64 v[196:197], v[76:77], s[10:11]
	v_mul_f64 v[200:201], v[76:77], s[16:17]
	;; [unrolled: 1-line block ×3, first 2 shown]
	v_add_f64 v[182:183], v[182:183], v[242:243]
	v_fma_f64 v[242:243], s[38:39], v[96:97], v[114:115]
	v_add_f64 v[244:245], v[244:245], v[246:247]
	v_mul_f64 v[104:105], v[104:105], s[6:7]
	v_fma_f64 v[246:247], s[14:15], v[76:77], v[84:85]
	v_fma_f64 v[76:77], v[76:77], s[14:15], -v[84:85]
	v_add_f64 v[64:65], v[12:13], v[64:65]
	v_mul_f64 v[208:209], v[90:91], s[14:15]
	v_mul_f64 v[212:213], v[90:91], s[26:27]
	;; [unrolled: 1-line block ×3, first 2 shown]
	v_add_f64 v[242:243], v[242:243], v[244:245]
	v_mul_f64 v[124:125], v[124:125], s[28:29]
	v_fma_f64 v[244:245], s[0:1], v[90:91], v[104:105]
	v_fma_f64 v[90:91], v[90:91], s[0:1], -v[104:105]
	v_add_f64 v[64:65], v[76:77], v[64:65]
	v_fmac_f64_e32 v[92:93], s[34:35], v[80:81]
	v_fma_f64 v[80:81], v[100:101], s[26:27], -v[124:125]
	v_add_f64 v[64:65], v[90:91], v[64:65]
	v_add_f64 v[84:85], v[142:143], v[194:195]
	v_mul_f64 v[138:139], v[138:139], s[36:37]
	v_fmac_f64_e32 v[74:75], s[22:23], v[66:67]
	v_add_f64 v[64:65], v[80:81], v[64:65]
	v_add_f64 v[80:81], v[144:145], v[206:207]
	;; [unrolled: 1-line block ×3, first 2 shown]
	v_mul_f64 v[230:231], v[132:133], s[0:1]
	v_add_f64 v[66:67], v[14:15], v[74:75]
	v_fma_f64 v[74:75], v[126:127], s[10:11], -v[138:139]
	v_add_f64 v[76:77], v[150:151], v[218:219]
	v_add_f64 v[80:81], v[80:81], v[84:85]
	v_add_f64 v[90:91], v[192:193], -v[130:131]
	v_add_f64 v[172:173], v[254:255], v[172:173]
	v_mul_f64 v[254:255], v[154:155], s[16:17]
	v_fmac_f64_e32 v[114:115], s[6:7], v[96:97]
	v_add_f64 v[66:67], v[92:93], v[66:67]
	v_add_f64 v[64:65], v[74:75], v[64:65]
	;; [unrolled: 1-line block ×4, first 2 shown]
	v_add_f64 v[84:85], v[204:205], -v[134:135]
	v_add_f64 v[90:91], v[12:13], v[90:91]
	v_add_f64 v[92:93], v[108:109], v[190:191]
	v_add_f64 v[96:97], v[188:189], -v[98:99]
	v_add_f64 v[58:59], v[58:59], v[186:187]
	v_add_f64 v[56:57], v[184:185], -v[56:57]
	v_mul_f64 v[228:229], v[100:101], s[0:1]
	v_add_f64 v[248:249], v[12:13], v[248:249]
	v_add_f64 v[70:71], v[156:157], v[254:255]
	v_add_f64 v[74:75], v[74:75], v[76:77]
	v_add_f64 v[80:81], v[216:217], -v[140:141]
	v_add_f64 v[84:85], v[84:85], v[90:91]
	v_add_f64 v[90:91], v[110:111], v[202:203]
	;; [unrolled: 1-line block ×8, first 2 shown]
	v_mul_f64 v[226:227], v[132:133], s[14:15]
	v_mul_f64 v[240:241], v[126:127], s[16:17]
	v_add_f64 v[76:77], v[70:71], v[74:75]
	v_add_f64 v[74:75], v[228:229], -v[146:147]
	v_add_f64 v[80:81], v[80:81], v[84:85]
	v_add_f64 v[84:85], v[118:119], v[214:215]
	;; [unrolled: 1-line block ×5, first 2 shown]
	v_mul_f64 v[238:239], v[154:155], s[0:1]
	v_add_f64 v[70:71], v[240:241], -v[148:149]
	v_add_f64 v[74:75], v[74:75], v[80:81]
	v_add_f64 v[80:81], v[122:123], v[226:227]
	v_add_f64 v[84:85], v[84:85], v[90:91]
	v_add_f64 v[90:91], v[200:201], -v[102:103]
	v_add_f64 v[14:15], v[26:27], v[14:15]
	v_add_f64 v[12:13], v[24:25], v[12:13]
	v_mul_f64 v[224:225], v[100:101], s[14:15]
	v_add_f64 v[74:75], v[70:71], v[74:75]
	v_add_f64 v[70:71], v[128:129], v[238:239]
	;; [unrolled: 1-line block ×3, first 2 shown]
	v_add_f64 v[84:85], v[212:213], -v[106:107]
	v_add_f64 v[90:91], v[90:91], v[96:97]
	v_add_f64 v[14:15], v[34:35], v[14:15]
	;; [unrolled: 1-line block ×3, first 2 shown]
	v_mul_f64 v[236:237], v[126:127], s[0:1]
	v_add_f64 v[92:93], v[70:71], v[80:81]
	v_add_f64 v[80:81], v[224:225], -v[112:113]
	v_add_f64 v[84:85], v[84:85], v[90:91]
	v_add_f64 v[62:63], v[62:63], v[198:199]
	;; [unrolled: 1-line block ×4, first 2 shown]
	v_mul_f64 v[222:223], v[132:133], s[16:17]
	v_add_f64 v[70:71], v[236:237], -v[120:121]
	v_add_f64 v[80:81], v[80:81], v[84:85]
	v_add_f64 v[72:73], v[72:73], v[210:211]
	;; [unrolled: 1-line block ×5, first 2 shown]
	v_mul_f64 v[234:235], v[154:155], s[26:27]
	v_mul_f64 v[132:133], v[132:133], s[26:27]
	v_add_f64 v[90:91], v[70:71], v[80:81]
	v_add_f64 v[80:81], v[82:83], v[222:223]
	;; [unrolled: 1-line block ×3, first 2 shown]
	v_add_f64 v[60:61], v[196:197], -v[60:61]
	v_add_f64 v[14:15], v[42:43], v[14:15]
	v_add_f64 v[12:13], v[40:41], v[12:13]
	v_mul_f64 v[220:221], v[100:101], s[16:17]
	v_add_f64 v[180:181], v[180:181], v[182:183]
	v_mul_f64 v[154:155], v[154:155], s[10:11]
	v_fma_f64 v[182:183], s[30:31], v[116:117], v[132:133]
	v_add_f64 v[246:247], v[246:247], v[248:249]
	v_add_f64 v[70:71], v[94:95], v[234:235]
	;; [unrolled: 1-line block ×3, first 2 shown]
	v_add_f64 v[68:69], v[208:209], -v[68:69]
	v_add_f64 v[56:57], v[60:61], v[56:57]
	v_add_f64 v[14:15], v[46:47], v[14:15]
	;; [unrolled: 1-line block ×3, first 2 shown]
	v_mul_f64 v[232:233], v[126:127], s[26:27]
	v_add_f64 v[176:177], v[176:177], v[180:181]
	v_fma_f64 v[180:181], s[20:21], v[136:137], v[154:155]
	v_add_f64 v[182:183], v[182:183], v[242:243]
	v_fma_f64 v[242:243], s[26:27], v[100:101], v[124:125]
	v_add_f64 v[244:245], v[244:245], v[246:247]
	v_fmac_f64_e32 v[132:133], s[28:29], v[116:117]
	v_add_f64 v[66:67], v[114:115], v[66:67]
	v_add_f64 v[58:59], v[70:71], v[58:59]
	v_add_f64 v[70:71], v[220:221], -v[78:79]
	v_add_f64 v[56:57], v[68:69], v[56:57]
	v_add_f64 v[14:15], v[50:51], v[14:15]
	;; [unrolled: 1-line block ×4, first 2 shown]
	v_fma_f64 v[180:181], s[10:11], v[126:127], v[138:139]
	v_add_f64 v[242:243], v[242:243], v[244:245]
	v_fmac_f64_e32 v[154:155], s[36:37], v[136:137]
	v_add_f64 v[66:67], v[132:133], v[66:67]
	v_add_f64 v[62:63], v[232:233], -v[86:87]
	v_add_f64 v[56:57], v[70:71], v[56:57]
	v_add_f64 v[14:15], v[54:55], v[14:15]
	;; [unrolled: 1-line block ×3, first 2 shown]
	v_add_lshl_u32 v16, v170, v169, 4
	v_add_f64 v[180:181], v[180:181], v[242:243]
	v_add_f64 v[66:67], v[154:155], v[66:67]
	;; [unrolled: 1-line block ×3, first 2 shown]
	ds_write_b128 v16, v[12:15]
	ds_write_b128 v16, v[56:59] offset:16
	ds_write_b128 v16, v[90:93] offset:32
	;; [unrolled: 1-line block ×10, first 2 shown]
.LBB0_7:
	s_or_b64 exec, exec, s[18:19]
	s_movk_i32 s6, 0x70
	v_mov_b64_e32 v[12:13], s[4:5]
	v_mad_u64_u32 v[40:41], s[4:5], v89, s6, v[12:13]
	s_load_dwordx4 s[0:3], s[2:3], 0x0
	s_waitcnt lgkmcnt(0)
	s_barrier
	global_load_dwordx4 v[24:27], v[40:41], off
	global_load_dwordx4 v[20:23], v[40:41], off offset:16
	global_load_dwordx4 v[16:19], v[40:41], off offset:32
	;; [unrolled: 1-line block ×6, first 2 shown]
	v_add_lshl_u32 v131, v170, v89, 4
	ds_read_b128 v[40:43], v131
	ds_read_b128 v[44:47], v131 offset:176
	ds_read_b128 v[48:51], v131 offset:352
	;; [unrolled: 1-line block ×7, first 2 shown]
	s_mov_b32 s4, 0x667f3bcd
	s_mov_b32 s5, 0xbfe6a09e
	;; [unrolled: 1-line block ×4, first 2 shown]
	v_lshl_add_u32 v130, v89, 4, v168
	s_waitcnt vmcnt(6) lgkmcnt(6)
	v_mul_f64 v[72:73], v[46:47], v[26:27]
	v_mul_f64 v[74:75], v[44:45], v[26:27]
	s_waitcnt vmcnt(5) lgkmcnt(5)
	v_mul_f64 v[76:77], v[50:51], v[22:23]
	v_mul_f64 v[78:79], v[48:49], v[22:23]
	;; [unrolled: 3-line block ×7, first 2 shown]
	v_fma_f64 v[44:45], v[44:45], v[24:25], -v[72:73]
	v_fmac_f64_e32 v[74:75], v[46:47], v[24:25]
	v_fma_f64 v[46:47], v[48:49], v[20:21], -v[76:77]
	v_fmac_f64_e32 v[78:79], v[50:51], v[20:21]
	;; [unrolled: 2-line block ×7, first 2 shown]
	v_add_f64 v[50:51], v[40:41], -v[50:51]
	v_add_f64 v[58:59], v[42:43], -v[86:87]
	;; [unrolled: 1-line block ×8, first 2 shown]
	v_fma_f64 v[40:41], v[40:41], 2.0, -v[50:51]
	v_fma_f64 v[46:47], v[46:47], 2.0, -v[54:55]
	;; [unrolled: 1-line block ×4, first 2 shown]
	v_add_f64 v[60:61], v[50:51], -v[60:61]
	v_add_f64 v[72:73], v[58:59], v[54:55]
	v_add_f64 v[74:75], v[52:53], -v[64:65]
	v_add_f64 v[76:77], v[62:63], v[56:57]
	v_fma_f64 v[42:43], v[42:43], 2.0, -v[58:59]
	v_fma_f64 v[44:45], v[44:45], 2.0, -v[52:53]
	;; [unrolled: 1-line block ×4, first 2 shown]
	v_add_f64 v[54:55], v[40:41], -v[46:47]
	v_fma_f64 v[46:47], v[50:51], 2.0, -v[60:61]
	v_fma_f64 v[64:65], v[58:59], 2.0, -v[72:73]
	;; [unrolled: 1-line block ×4, first 2 shown]
	v_add_f64 v[78:79], v[42:43], -v[66:67]
	v_add_f64 v[66:67], v[44:45], -v[48:49]
	v_fma_f64 v[56:57], s[4:5], v[52:53], v[46:47]
	v_fma_f64 v[58:59], s[4:5], v[62:63], v[64:65]
	v_add_f64 v[70:71], v[68:69], -v[70:71]
	v_fma_f64 v[40:41], v[40:41], 2.0, -v[54:55]
	v_fma_f64 v[44:45], v[44:45], 2.0, -v[66:67]
	v_fmac_f64_e32 v[56:57], s[4:5], v[62:63]
	v_fmac_f64_e32 v[58:59], s[6:7], v[52:53]
	v_fma_f64 v[42:43], v[42:43], 2.0, -v[78:79]
	v_fma_f64 v[50:51], v[68:69], 2.0, -v[70:71]
	v_add_f64 v[48:49], v[40:41], -v[44:45]
	v_fma_f64 v[44:45], v[46:47], 2.0, -v[56:57]
	v_fma_f64 v[46:47], v[64:65], 2.0, -v[58:59]
	v_add_f64 v[64:65], v[54:55], -v[70:71]
	v_fma_f64 v[68:69], s[6:7], v[74:75], v[60:61]
	v_fma_f64 v[70:71], s[6:7], v[76:77], v[72:73]
	v_add_f64 v[50:51], v[42:43], -v[50:51]
	v_add_f64 v[66:67], v[78:79], v[66:67]
	v_fmac_f64_e32 v[68:69], s[4:5], v[76:77]
	v_fmac_f64_e32 v[70:71], s[6:7], v[74:75]
	v_fma_f64 v[40:41], v[40:41], 2.0, -v[48:49]
	v_fma_f64 v[42:43], v[42:43], 2.0, -v[50:51]
	;; [unrolled: 1-line block ×6, first 2 shown]
	ds_write_b128 v130, v[40:43]
	ds_write_b128 v130, v[44:47] offset:176
	ds_write_b128 v130, v[52:55] offset:352
	;; [unrolled: 1-line block ×7, first 2 shown]
	s_waitcnt lgkmcnt(0)
	s_barrier
	s_and_saveexec_b64 s[4:5], vcc
	s_cbranch_execz .LBB0_9
; %bb.8:
	global_load_dwordx4 v[76:79], v162, s[8:9] offset:1408
	s_add_u32 s6, s8, 0x580
	s_addc_u32 s7, s9, 0
	global_load_dwordx4 v[72:75], v162, s[6:7] offset:128
	global_load_dwordx4 v[80:83], v162, s[6:7] offset:256
	;; [unrolled: 1-line block ×10, first 2 shown]
	ds_read_b128 v[118:121], v167
	s_waitcnt vmcnt(10) lgkmcnt(0)
	v_mul_f64 v[122:123], v[120:121], v[78:79]
	v_mul_f64 v[124:125], v[118:119], v[78:79]
	v_fma_f64 v[122:123], v[118:119], v[76:77], -v[122:123]
	v_fmac_f64_e32 v[124:125], v[120:121], v[76:77]
	ds_write_b128 v167, v[122:125]
	ds_read_b128 v[76:79], v130 offset:128
	ds_read_b128 v[118:121], v130 offset:256
	ds_read_b128 v[122:125], v130 offset:384
	ds_read_b128 v[126:129], v130 offset:512
	ds_read_b128 v[132:135], v130 offset:640
	ds_read_b128 v[136:139], v130 offset:768
	ds_read_b128 v[140:143], v130 offset:896
	ds_read_b128 v[144:147], v130 offset:1024
	ds_read_b128 v[148:151], v130 offset:1152
	ds_read_b128 v[152:155], v130 offset:1280
	s_waitcnt vmcnt(9) lgkmcnt(9)
	v_mul_f64 v[156:157], v[78:79], v[74:75]
	v_mul_f64 v[172:173], v[76:77], v[74:75]
	s_waitcnt vmcnt(8) lgkmcnt(8)
	v_mul_f64 v[174:175], v[120:121], v[82:83]
	v_mul_f64 v[74:75], v[118:119], v[82:83]
	;; [unrolled: 3-line block ×10, first 2 shown]
	v_fma_f64 v[170:171], v[76:77], v[72:73], -v[156:157]
	v_fmac_f64_e32 v[172:173], v[78:79], v[72:73]
	v_fma_f64 v[72:73], v[118:119], v[80:81], -v[174:175]
	v_fmac_f64_e32 v[74:75], v[120:121], v[80:81]
	;; [unrolled: 2-line block ×10, first 2 shown]
	ds_write_b128 v130, v[170:173] offset:128
	ds_write_b128 v130, v[72:75] offset:256
	;; [unrolled: 1-line block ×10, first 2 shown]
.LBB0_9:
	s_or_b64 exec, exec, s[4:5]
	s_waitcnt lgkmcnt(0)
	s_barrier
	s_and_saveexec_b64 s[4:5], vcc
	s_cbranch_execz .LBB0_11
; %bb.10:
	ds_read_b128 v[40:43], v167
	ds_read_b128 v[44:47], v130 offset:128
	ds_read_b128 v[52:55], v130 offset:256
	;; [unrolled: 1-line block ×10, first 2 shown]
.LBB0_11:
	s_or_b64 exec, exec, s[4:5]
	s_waitcnt lgkmcnt(0)
	s_barrier
	s_and_saveexec_b64 s[4:5], vcc
	s_cbranch_execz .LBB0_13
; %bb.12:
	s_mov_b32 s26, 0xfd768dbf
	s_mov_b32 s28, 0xf8bb580b
	v_add_f64 v[118:119], v[44:45], -v[0:1]
	s_mov_b32 s27, 0xbfd207e7
	s_mov_b32 s24, 0x9bcd5057
	v_add_f64 v[112:113], v[52:53], -v[4:5]
	s_mov_b32 s29, 0x3fe14ced
	s_mov_b32 s20, 0x8764f0ba
	v_mul_f64 v[132:133], v[118:119], s[26:27]
	v_add_f64 v[104:105], v[2:3], v[46:47]
	s_mov_b32 s25, 0xbfeeb42a
	v_add_f64 v[102:103], v[60:61], -v[8:9]
	v_mul_f64 v[84:85], v[112:113], s[28:29]
	v_add_f64 v[98:99], v[54:55], v[6:7]
	s_mov_b32 s21, 0x3feaeb8c
	v_fma_f64 v[106:107], s[24:25], v[104:105], v[132:133]
	v_fma_f64 v[132:133], v[104:105], s[24:25], -v[132:133]
	s_mov_b32 s14, 0x43842ef
	v_add_f64 v[100:101], v[48:49], -v[68:69]
	s_mov_b32 s19, 0x3fed1bb4
	s_mov_b32 s18, 0x8eee2c13
	v_mul_f64 v[80:81], v[102:103], s[22:23]
	v_add_f64 v[94:95], v[10:11], v[62:63]
	v_fma_f64 v[86:87], s[20:21], v[98:99], v[84:85]
	v_fma_f64 v[84:85], v[98:99], s[20:21], -v[84:85]
	v_add_f64 v[132:133], v[42:43], v[132:133]
	v_add_f64 v[96:97], v[56:57], -v[64:65]
	s_mov_b32 s15, 0xbfefac9e
	s_mov_b32 s6, 0x640f44db
	v_mul_f64 v[78:79], v[100:101], s[18:19]
	v_add_f64 v[92:93], v[70:71], v[50:51]
	v_fma_f64 v[82:83], s[16:17], v[94:95], v[80:81]
	v_add_f64 v[128:129], v[46:47], -v[2:3]
	v_fma_f64 v[80:81], v[94:95], s[16:17], -v[80:81]
	v_add_f64 v[84:85], v[84:85], v[132:133]
	v_mul_f64 v[76:77], v[96:97], s[14:15]
	v_add_f64 v[90:91], v[58:59], v[66:67]
	s_mov_b32 s7, 0xbfc2375f
	v_fma_f64 v[74:75], s[10:11], v[92:93], v[78:79]
	v_add_f64 v[126:127], v[54:55], -v[6:7]
	v_add_f64 v[116:117], v[0:1], v[44:45]
	v_mul_f64 v[144:145], v[128:129], s[26:27]
	v_fma_f64 v[78:79], v[92:93], s[10:11], -v[78:79]
	v_add_f64 v[80:81], v[80:81], v[84:85]
	v_fma_f64 v[72:73], s[6:7], v[90:91], v[76:77]
	v_add_f64 v[106:107], v[42:43], v[106:107]
	v_add_f64 v[124:125], v[62:63], -v[10:11]
	v_add_f64 v[114:115], v[52:53], v[4:5]
	v_mul_f64 v[140:141], v[126:127], s[28:29]
	v_fma_f64 v[146:147], v[116:117], s[24:25], -v[144:145]
	v_fma_f64 v[76:77], v[90:91], s[6:7], -v[76:77]
	v_add_f64 v[78:79], v[78:79], v[80:81]
	v_fmac_f64_e32 v[144:145], s[24:25], v[116:117]
	v_add_f64 v[86:87], v[86:87], v[106:107]
	v_add_f64 v[122:123], v[50:51], -v[70:71]
	v_add_f64 v[110:111], v[8:9], v[60:61]
	v_mul_f64 v[136:137], v[124:125], s[22:23]
	v_fma_f64 v[142:143], v[114:115], s[20:21], -v[140:141]
	v_add_f64 v[146:147], v[40:41], v[146:147]
	v_add_f64 v[78:79], v[76:77], v[78:79]
	v_fmac_f64_e32 v[140:141], s[20:21], v[114:115]
	v_add_f64 v[76:77], v[40:41], v[144:145]
	v_add_f64 v[82:83], v[82:83], v[86:87]
	v_add_f64 v[120:121], v[58:59], -v[66:67]
	v_add_f64 v[108:109], v[68:69], v[48:49]
	v_mul_f64 v[86:87], v[122:123], s[18:19]
	v_fma_f64 v[138:139], v[110:111], s[16:17], -v[136:137]
	v_add_f64 v[142:143], v[142:143], v[146:147]
	v_fmac_f64_e32 v[136:137], s[16:17], v[110:111]
	v_add_f64 v[76:77], v[140:141], v[76:77]
	s_mov_b32 s34, s14
	v_mul_f64 v[140:141], v[118:119], s[22:23]
	v_add_f64 v[74:75], v[74:75], v[82:83]
	v_add_f64 v[106:107], v[56:57], v[64:65]
	v_mul_f64 v[82:83], v[120:121], s[14:15]
	v_fma_f64 v[134:135], v[108:109], s[10:11], -v[86:87]
	v_add_f64 v[138:139], v[138:139], v[142:143]
	v_add_f64 v[76:77], v[136:137], v[76:77]
	s_mov_b32 s31, 0xbfe14ced
	s_mov_b32 s30, s28
	v_mul_f64 v[136:137], v[112:113], s[34:35]
	v_fma_f64 v[142:143], s[16:17], v[104:105], v[140:141]
	v_fma_f64 v[140:141], v[104:105], s[16:17], -v[140:141]
	v_add_f64 v[74:75], v[72:73], v[74:75]
	v_fma_f64 v[72:73], v[106:107], s[6:7], -v[82:83]
	v_add_f64 v[134:135], v[134:135], v[138:139]
	v_fmac_f64_e32 v[86:87], s[10:11], v[108:109]
	v_mul_f64 v[132:133], v[102:103], s[30:31]
	v_fma_f64 v[138:139], s[6:7], v[98:99], v[136:137]
	v_fma_f64 v[136:137], v[98:99], s[6:7], -v[136:137]
	v_add_f64 v[140:141], v[42:43], v[140:141]
	v_add_f64 v[72:73], v[72:73], v[134:135]
	v_fmac_f64_e32 v[82:83], s[6:7], v[106:107]
	v_add_f64 v[76:77], v[86:87], v[76:77]
	v_mul_f64 v[86:87], v[100:101], s[26:27]
	v_fma_f64 v[134:135], s[20:21], v[94:95], v[132:133]
	v_fma_f64 v[132:133], v[94:95], s[20:21], -v[132:133]
	v_add_f64 v[136:137], v[136:137], v[140:141]
	v_add_f64 v[76:77], v[82:83], v[76:77]
	v_mul_f64 v[84:85], v[96:97], s[18:19]
	v_fma_f64 v[82:83], s[24:25], v[92:93], v[86:87]
	v_mul_f64 v[152:153], v[128:129], s[22:23]
	v_fma_f64 v[86:87], v[92:93], s[24:25], -v[86:87]
	v_add_f64 v[132:133], v[132:133], v[136:137]
	v_fma_f64 v[80:81], s[10:11], v[90:91], v[84:85]
	v_add_f64 v[142:143], v[42:43], v[142:143]
	v_mul_f64 v[148:149], v[126:127], s[34:35]
	v_fma_f64 v[154:155], v[116:117], s[16:17], -v[152:153]
	v_fma_f64 v[84:85], v[90:91], s[10:11], -v[84:85]
	v_add_f64 v[86:87], v[86:87], v[132:133]
	v_fmac_f64_e32 v[152:153], s[16:17], v[116:117]
	v_add_f64 v[138:139], v[138:139], v[142:143]
	v_mul_f64 v[144:145], v[124:125], s[30:31]
	v_fma_f64 v[150:151], v[114:115], s[6:7], -v[148:149]
	v_add_f64 v[154:155], v[40:41], v[154:155]
	v_add_f64 v[86:87], v[84:85], v[86:87]
	v_fmac_f64_e32 v[148:149], s[6:7], v[114:115]
	v_add_f64 v[84:85], v[40:41], v[152:153]
	v_add_f64 v[134:135], v[134:135], v[138:139]
	v_mul_f64 v[138:139], v[122:123], s[26:27]
	v_fma_f64 v[146:147], v[110:111], s[20:21], -v[144:145]
	v_add_f64 v[150:151], v[150:151], v[154:155]
	v_fmac_f64_e32 v[144:145], s[20:21], v[110:111]
	v_add_f64 v[84:85], v[148:149], v[84:85]
	s_mov_b32 s37, 0x3fd207e7
	s_mov_b32 s36, s26
	v_mul_f64 v[148:149], v[118:119], s[14:15]
	v_add_f64 v[82:83], v[82:83], v[134:135]
	v_mul_f64 v[134:135], v[120:121], s[18:19]
	v_fma_f64 v[142:143], v[108:109], s[24:25], -v[138:139]
	v_add_f64 v[146:147], v[146:147], v[150:151]
	v_add_f64 v[84:85], v[144:145], v[84:85]
	v_mul_f64 v[144:145], v[112:113], s[36:37]
	v_fma_f64 v[150:151], s[6:7], v[104:105], v[148:149]
	v_fma_f64 v[148:149], v[104:105], s[6:7], -v[148:149]
	v_add_f64 v[82:83], v[80:81], v[82:83]
	v_fma_f64 v[80:81], v[106:107], s[10:11], -v[134:135]
	v_add_f64 v[142:143], v[142:143], v[146:147]
	v_fmac_f64_e32 v[138:139], s[24:25], v[108:109]
	v_mul_f64 v[140:141], v[102:103], s[18:19]
	v_fma_f64 v[146:147], s[24:25], v[98:99], v[144:145]
	v_fma_f64 v[144:145], v[98:99], s[24:25], -v[144:145]
	v_add_f64 v[148:149], v[42:43], v[148:149]
	v_add_f64 v[80:81], v[80:81], v[142:143]
	v_fmac_f64_e32 v[134:135], s[10:11], v[106:107]
	v_add_f64 v[84:85], v[138:139], v[84:85]
	v_mul_f64 v[138:139], v[100:101], s[30:31]
	v_fma_f64 v[142:143], s[10:11], v[94:95], v[140:141]
	v_fma_f64 v[140:141], v[94:95], s[10:11], -v[140:141]
	v_add_f64 v[144:145], v[144:145], v[148:149]
	v_add_f64 v[84:85], v[134:135], v[84:85]
	v_mul_f64 v[136:137], v[96:97], s[22:23]
	v_fma_f64 v[134:135], s[20:21], v[92:93], v[138:139]
	v_mul_f64 v[172:173], v[128:129], s[14:15]
	v_fma_f64 v[138:139], v[92:93], s[20:21], -v[138:139]
	v_add_f64 v[140:141], v[140:141], v[144:145]
	v_fma_f64 v[132:133], s[16:17], v[90:91], v[136:137]
	v_add_f64 v[150:151], v[42:43], v[150:151]
	v_mul_f64 v[156:157], v[126:127], s[36:37]
	v_fma_f64 v[174:175], v[116:117], s[6:7], -v[172:173]
	v_fma_f64 v[136:137], v[90:91], s[16:17], -v[136:137]
	v_add_f64 v[138:139], v[138:139], v[140:141]
	v_fmac_f64_e32 v[172:173], s[6:7], v[116:117]
	v_add_f64 v[146:147], v[146:147], v[150:151]
	v_mul_f64 v[152:153], v[124:125], s[18:19]
	v_fma_f64 v[170:171], v[114:115], s[24:25], -v[156:157]
	v_add_f64 v[174:175], v[40:41], v[174:175]
	v_add_f64 v[138:139], v[136:137], v[138:139]
	v_fmac_f64_e32 v[156:157], s[24:25], v[114:115]
	v_add_f64 v[136:137], v[40:41], v[172:173]
	s_mov_b32 s19, 0xbfed1bb4
	v_add_f64 v[142:143], v[142:143], v[146:147]
	v_mul_f64 v[146:147], v[122:123], s[30:31]
	v_fma_f64 v[154:155], v[110:111], s[10:11], -v[152:153]
	v_add_f64 v[170:171], v[170:171], v[174:175]
	v_fmac_f64_e32 v[152:153], s[10:11], v[110:111]
	v_add_f64 v[136:137], v[156:157], v[136:137]
	v_mul_f64 v[156:157], v[118:119], s[18:19]
	v_add_f64 v[134:135], v[134:135], v[142:143]
	v_mul_f64 v[142:143], v[120:121], s[22:23]
	v_fma_f64 v[150:151], v[108:109], s[20:21], -v[146:147]
	v_add_f64 v[154:155], v[154:155], v[170:171]
	v_add_f64 v[136:137], v[152:153], v[136:137]
	v_mul_f64 v[152:153], v[112:113], s[22:23]
	v_fma_f64 v[170:171], s[10:11], v[104:105], v[156:157]
	v_fma_f64 v[156:157], v[104:105], s[10:11], -v[156:157]
	v_add_f64 v[134:135], v[132:133], v[134:135]
	v_fma_f64 v[132:133], v[106:107], s[16:17], -v[142:143]
	v_add_f64 v[150:151], v[150:151], v[154:155]
	v_fmac_f64_e32 v[146:147], s[20:21], v[108:109]
	v_mul_f64 v[148:149], v[102:103], s[36:37]
	v_fma_f64 v[154:155], s[16:17], v[98:99], v[152:153]
	v_fma_f64 v[152:153], v[98:99], s[16:17], -v[152:153]
	v_add_f64 v[156:157], v[42:43], v[156:157]
	v_add_f64 v[132:133], v[132:133], v[150:151]
	v_fmac_f64_e32 v[142:143], s[16:17], v[106:107]
	v_add_f64 v[136:137], v[146:147], v[136:137]
	v_mul_f64 v[146:147], v[100:101], s[34:35]
	v_fma_f64 v[150:151], s[24:25], v[94:95], v[148:149]
	v_fma_f64 v[148:149], v[94:95], s[24:25], -v[148:149]
	v_add_f64 v[152:153], v[152:153], v[156:157]
	v_add_f64 v[136:137], v[142:143], v[136:137]
	v_mul_f64 v[144:145], v[96:97], s[28:29]
	v_fma_f64 v[142:143], s[6:7], v[92:93], v[146:147]
	v_mul_f64 v[180:181], v[128:129], s[18:19]
	v_fma_f64 v[146:147], v[92:93], s[6:7], -v[146:147]
	v_add_f64 v[148:149], v[148:149], v[152:153]
	v_fma_f64 v[140:141], s[20:21], v[90:91], v[144:145]
	v_add_f64 v[170:171], v[42:43], v[170:171]
	v_mul_f64 v[176:177], v[126:127], s[22:23]
	v_fma_f64 v[182:183], v[116:117], s[10:11], -v[180:181]
	v_fma_f64 v[144:145], v[90:91], s[20:21], -v[144:145]
	v_add_f64 v[146:147], v[146:147], v[148:149]
	v_fmac_f64_e32 v[180:181], s[10:11], v[116:117]
	v_add_f64 v[154:155], v[154:155], v[170:171]
	v_mul_f64 v[172:173], v[124:125], s[36:37]
	v_fma_f64 v[178:179], v[114:115], s[16:17], -v[176:177]
	v_add_f64 v[146:147], v[144:145], v[146:147]
	v_fmac_f64_e32 v[176:177], s[16:17], v[114:115]
	v_add_f64 v[144:145], v[40:41], v[180:181]
	v_add_f64 v[150:151], v[150:151], v[154:155]
	v_mul_f64 v[154:155], v[122:123], s[34:35]
	v_fma_f64 v[174:175], v[110:111], s[24:25], -v[172:173]
	v_fmac_f64_e32 v[172:173], s[24:25], v[110:111]
	v_add_f64 v[144:145], v[176:177], v[144:145]
	v_fma_f64 v[170:171], v[108:109], s[6:7], -v[154:155]
	v_fmac_f64_e32 v[154:155], s[6:7], v[108:109]
	v_add_f64 v[144:145], v[172:173], v[144:145]
	v_mul_f64 v[96:97], v[96:97], s[26:27]
	v_mul_f64 v[112:113], v[112:113], s[18:19]
	;; [unrolled: 1-line block ×3, first 2 shown]
	v_add_f64 v[144:145], v[154:155], v[144:145]
	v_fma_f64 v[148:149], s[24:25], v[90:91], v[96:97]
	v_fma_f64 v[154:155], s[10:11], v[98:99], v[112:113]
	;; [unrolled: 1-line block ×3, first 2 shown]
	v_fma_f64 v[90:91], v[90:91], s[24:25], -v[96:97]
	v_fma_f64 v[96:97], v[98:99], s[10:11], -v[112:113]
	;; [unrolled: 1-line block ×3, first 2 shown]
	v_add_f64 v[156:157], v[42:43], v[156:157]
	v_add_f64 v[98:99], v[42:43], v[98:99]
	;; [unrolled: 1-line block ×14, first 2 shown]
	v_mul_f64 v[150:151], v[120:121], s[28:29]
	v_add_f64 v[182:183], v[40:41], v[182:183]
	v_add_f64 v[6:7], v[52:53], v[6:7]
	v_add_f64 v[142:143], v[140:141], v[142:143]
	v_fma_f64 v[140:141], v[106:107], s[20:21], -v[150:151]
	v_add_f64 v[178:179], v[178:179], v[182:183]
	v_fmac_f64_e32 v[150:151], s[20:21], v[106:107]
	v_mul_f64 v[152:153], v[102:103], s[14:15]
	v_add_f64 v[6:7], v[60:61], v[6:7]
	v_add_f64 v[174:175], v[174:175], v[178:179]
	;; [unrolled: 1-line block ×3, first 2 shown]
	v_mul_f64 v[150:151], v[100:101], s[22:23]
	v_fma_f64 v[102:103], s[6:7], v[94:95], v[152:153]
	v_fma_f64 v[94:95], v[94:95], s[6:7], -v[152:153]
	v_add_f64 v[96:97], v[96:97], v[98:99]
	v_add_f64 v[6:7], v[48:49], v[6:7]
	;; [unrolled: 1-line block ×3, first 2 shown]
	v_fma_f64 v[100:101], s[16:17], v[92:93], v[150:151]
	v_mul_f64 v[128:129], v[128:129], s[30:31]
	v_fma_f64 v[92:93], v[92:93], s[16:17], -v[150:151]
	v_add_f64 v[94:95], v[94:95], v[96:97]
	v_add_f64 v[6:7], v[56:57], v[6:7]
	;; [unrolled: 1-line block ×4, first 2 shown]
	v_mul_f64 v[126:127], v[126:127], s[18:19]
	v_fma_f64 v[170:171], v[116:117], s[20:21], -v[128:129]
	v_add_f64 v[92:93], v[92:93], v[94:95]
	v_fmac_f64_e32 v[128:129], s[20:21], v[116:117]
	v_add_f64 v[6:7], v[64:65], v[6:7]
	v_add_f64 v[102:103], v[102:103], v[154:155]
	v_mul_f64 v[124:125], v[124:125], s[14:15]
	v_fma_f64 v[156:157], v[114:115], s[10:11], -v[126:127]
	v_add_f64 v[170:171], v[40:41], v[170:171]
	v_add_f64 v[92:93], v[90:91], v[92:93]
	v_fmac_f64_e32 v[126:127], s[10:11], v[114:115]
	v_add_f64 v[90:91], v[40:41], v[128:129]
	v_add_f64 v[6:7], v[68:69], v[6:7]
	;; [unrolled: 1-line block ×3, first 2 shown]
	v_mul_f64 v[122:123], v[122:123], s[22:23]
	v_fma_f64 v[154:155], v[110:111], s[6:7], -v[124:125]
	v_add_f64 v[156:157], v[156:157], v[170:171]
	v_fmac_f64_e32 v[124:125], s[6:7], v[110:111]
	v_add_f64 v[90:91], v[126:127], v[90:91]
	v_add_f64 v[6:7], v[8:9], v[6:7]
	;; [unrolled: 1-line block ×3, first 2 shown]
	v_mul_f64 v[120:121], v[120:121], s[26:27]
	v_fma_f64 v[148:149], v[108:109], s[16:17], -v[122:123]
	v_add_f64 v[154:155], v[154:155], v[156:157]
	v_fmac_f64_e32 v[122:123], s[16:17], v[108:109]
	v_add_f64 v[90:91], v[124:125], v[90:91]
	v_add_f64 v[4:5], v[4:5], v[6:7]
	v_fma_f64 v[100:101], v[106:107], s[24:25], -v[120:121]
	v_add_f64 v[148:149], v[148:149], v[154:155]
	v_fmac_f64_e32 v[120:121], s[24:25], v[106:107]
	v_add_f64 v[90:91], v[122:123], v[90:91]
	v_add_f64 v[0:1], v[0:1], v[4:5]
	v_lshl_add_u32 v4, v169, 4, v168
	v_add_f64 v[100:101], v[100:101], v[148:149]
	v_add_f64 v[90:91], v[120:121], v[90:91]
	ds_write_b128 v4, v[0:3]
	ds_write_b128 v4, v[90:93] offset:16
	ds_write_b128 v4, v[144:147] offset:32
	;; [unrolled: 1-line block ×10, first 2 shown]
.LBB0_13:
	s_or_b64 exec, exec, s[4:5]
	s_waitcnt lgkmcnt(0)
	s_barrier
	ds_read_b128 v[0:3], v131
	ds_read_b128 v[4:7], v131 offset:176
	ds_read_b128 v[8:11], v131 offset:352
	;; [unrolled: 1-line block ×7, first 2 shown]
	s_waitcnt lgkmcnt(6)
	v_mul_f64 v[60:61], v[26:27], v[6:7]
	v_fmac_f64_e32 v[60:61], v[24:25], v[4:5]
	v_mul_f64 v[4:5], v[26:27], v[4:5]
	v_fma_f64 v[4:5], v[24:25], v[6:7], -v[4:5]
	s_waitcnt lgkmcnt(5)
	v_mul_f64 v[6:7], v[22:23], v[10:11]
	v_fmac_f64_e32 v[6:7], v[20:21], v[8:9]
	v_mul_f64 v[8:9], v[22:23], v[8:9]
	v_fma_f64 v[8:9], v[20:21], v[10:11], -v[8:9]
	s_waitcnt lgkmcnt(4)
	v_mul_f64 v[10:11], v[18:19], v[42:43]
	v_mul_f64 v[18:19], v[18:19], v[40:41]
	v_fmac_f64_e32 v[10:11], v[16:17], v[40:41]
	v_fma_f64 v[16:17], v[16:17], v[42:43], -v[18:19]
	s_waitcnt lgkmcnt(3)
	v_mul_f64 v[18:19], v[14:15], v[46:47]
	v_mul_f64 v[14:15], v[14:15], v[44:45]
	v_fmac_f64_e32 v[18:19], v[12:13], v[44:45]
	v_fma_f64 v[12:13], v[12:13], v[46:47], -v[14:15]
	s_waitcnt lgkmcnt(2)
	v_mul_f64 v[14:15], v[38:39], v[50:51]
	v_mul_f64 v[20:21], v[38:39], v[48:49]
	s_waitcnt lgkmcnt(1)
	v_mul_f64 v[22:23], v[34:35], v[54:55]
	v_mul_f64 v[24:25], v[34:35], v[52:53]
	;; [unrolled: 3-line block ×3, first 2 shown]
	v_fmac_f64_e32 v[14:15], v[36:37], v[48:49]
	v_fma_f64 v[20:21], v[36:37], v[50:51], -v[20:21]
	v_fmac_f64_e32 v[22:23], v[32:33], v[52:53]
	v_fma_f64 v[24:25], v[32:33], v[54:55], -v[24:25]
	;; [unrolled: 2-line block ×3, first 2 shown]
	v_add_f64 v[18:19], v[0:1], -v[18:19]
	v_add_f64 v[12:13], v[2:3], -v[12:13]
	;; [unrolled: 1-line block ×8, first 2 shown]
	v_fma_f64 v[0:1], v[0:1], 2.0, -v[18:19]
	v_fma_f64 v[2:3], v[2:3], 2.0, -v[12:13]
	;; [unrolled: 1-line block ×8, first 2 shown]
	v_add_f64 v[32:33], v[0:1], -v[6:7]
	v_add_f64 v[34:35], v[2:3], -v[8:9]
	v_add_f64 v[36:37], v[18:19], v[24:25]
	v_add_f64 v[24:25], v[30:31], -v[10:11]
	v_add_f64 v[16:17], v[4:5], -v[16:17]
	v_fma_f64 v[6:7], v[0:1], 2.0, -v[32:33]
	v_fma_f64 v[8:9], v[2:3], 2.0, -v[34:35]
	v_add_f64 v[38:39], v[12:13], -v[22:23]
	v_fma_f64 v[0:1], v[30:31], 2.0, -v[24:25]
	v_fma_f64 v[2:3], v[4:5], 2.0, -v[16:17]
	v_add_f64 v[28:29], v[14:15], v[28:29]
	s_mov_b32 s4, 0x667f3bcd
	v_fma_f64 v[18:19], v[18:19], 2.0, -v[36:37]
	v_fma_f64 v[22:23], v[12:13], 2.0, -v[38:39]
	v_add_f64 v[30:31], v[20:21], -v[26:27]
	v_fma_f64 v[12:13], v[14:15], 2.0, -v[28:29]
	v_add_f64 v[0:1], v[6:7], -v[0:1]
	v_add_f64 v[2:3], v[8:9], -v[2:3]
	s_mov_b32 s5, 0xbfe6a09e
	v_fma_f64 v[14:15], v[20:21], 2.0, -v[30:31]
	v_fma_f64 v[4:5], v[6:7], 2.0, -v[0:1]
	;; [unrolled: 1-line block ×3, first 2 shown]
	v_fma_f64 v[8:9], s[4:5], v[12:13], v[18:19]
	s_mov_b32 s7, 0x3fe6a09e
	s_mov_b32 s6, s4
	v_fma_f64 v[10:11], s[4:5], v[14:15], v[22:23]
	v_fmac_f64_e32 v[8:9], s[6:7], v[14:15]
	v_fmac_f64_e32 v[10:11], s[4:5], v[12:13]
	v_fma_f64 v[12:13], v[18:19], 2.0, -v[8:9]
	v_add_f64 v[18:19], v[34:35], -v[24:25]
	v_fma_f64 v[24:25], s[6:7], v[28:29], v[36:37]
	v_fma_f64 v[26:27], s[6:7], v[30:31], v[38:39]
	v_add_f64 v[16:17], v[32:33], v[16:17]
	v_fmac_f64_e32 v[24:25], s[6:7], v[30:31]
	v_fmac_f64_e32 v[26:27], s[4:5], v[28:29]
	v_fma_f64 v[14:15], v[22:23], 2.0, -v[10:11]
	v_fma_f64 v[20:21], v[32:33], 2.0, -v[16:17]
	;; [unrolled: 1-line block ×5, first 2 shown]
	ds_write_b128 v130, v[4:7]
	ds_write_b128 v130, v[12:15] offset:176
	ds_write_b128 v130, v[20:23] offset:352
	;; [unrolled: 1-line block ×7, first 2 shown]
	s_waitcnt lgkmcnt(0)
	s_barrier
	s_and_b64 exec, exec, vcc
	s_cbranch_execz .LBB0_15
; %bb.14:
	global_load_dwordx4 v[0:3], v162, s[8:9]
	global_load_dwordx4 v[4:7], v162, s[8:9] offset:128
	global_load_dwordx4 v[8:11], v162, s[8:9] offset:256
	;; [unrolled: 1-line block ×4, first 2 shown]
	ds_read_b128 v[24:27], v167
	ds_read_b128 v[28:31], v130 offset:128
	ds_read_b128 v[32:35], v130 offset:256
	global_load_dwordx4 v[16:19], v162, s[8:9] offset:640
	ds_read_b128 v[36:39], v130 offset:384
	ds_read_b128 v[40:43], v130 offset:512
	global_load_dwordx4 v[44:47], v162, s[8:9] offset:768
	global_load_dwordx4 v[48:51], v162, s[8:9] offset:896
	;; [unrolled: 1-line block ×4, first 2 shown]
	v_mad_u64_u32 v[62:63], s[4:5], s2, v88, 0
	v_mad_u64_u32 v[64:65], s[6:7], s0, v89, 0
	;; [unrolled: 1-line block ×5, first 2 shown]
	v_mov_b32_e32 v72, v63
	v_mov_b32_e32 v74, v65
	v_mov_b32_e32 v76, v67
	v_mov_b32_e32 v78, v69
	v_mov_b32_e32 v80, v71
	v_mad_u64_u32 v[72:73], s[2:3], s3, v88, v[72:73]
	v_mov_b32_e32 v60, s12
	v_mov_b32_e32 v61, s13
	v_mad_u64_u32 v[74:75], s[2:3], s1, v89, v[74:75]
	v_mad_u64_u32 v[76:77], s[2:3], s1, v164, v[76:77]
	;; [unrolled: 1-line block ×4, first 2 shown]
	v_mov_b32_e32 v63, v72
	v_mov_b32_e32 v65, v74
	;; [unrolled: 1-line block ×5, first 2 shown]
	v_lshl_add_u64 v[60:61], v[62:63], 4, v[60:61]
	s_mov_b32 s4, 0x745d1746
	v_lshl_add_u64 v[62:63], v[64:65], 4, v[60:61]
	v_lshl_add_u64 v[64:65], v[66:67], 4, v[60:61]
	;; [unrolled: 1-line block ×4, first 2 shown]
	s_mov_b32 s5, 0x3f8745d1
	s_waitcnt vmcnt(9) lgkmcnt(4)
	v_mul_f64 v[70:71], v[26:27], v[2:3]
	v_mul_f64 v[2:3], v[24:25], v[2:3]
	s_waitcnt vmcnt(8) lgkmcnt(3)
	v_mul_f64 v[72:73], v[30:31], v[6:7]
	v_mul_f64 v[6:7], v[28:29], v[6:7]
	s_waitcnt vmcnt(7) lgkmcnt(2)
	v_mul_f64 v[74:75], v[34:35], v[10:11]
	v_mul_f64 v[10:11], v[32:33], v[10:11]
	s_waitcnt vmcnt(6) lgkmcnt(1)
	v_mul_f64 v[76:77], v[38:39], v[14:15]
	v_mul_f64 v[14:15], v[36:37], v[14:15]
	v_fmac_f64_e32 v[70:71], v[24:25], v[0:1]
	v_fma_f64 v[2:3], v[0:1], v[26:27], -v[2:3]
	v_fmac_f64_e32 v[72:73], v[28:29], v[4:5]
	v_fma_f64 v[6:7], v[4:5], v[30:31], -v[6:7]
	;; [unrolled: 2-line block ×4, first 2 shown]
	v_mul_f64 v[0:1], v[70:71], s[4:5]
	v_mul_f64 v[2:3], v[2:3], s[4:5]
	v_mul_f64 v[4:5], v[72:73], s[4:5]
	v_mul_f64 v[6:7], v[6:7], s[4:5]
	v_mul_f64 v[8:9], v[74:75], s[4:5]
	v_mul_f64 v[10:11], v[10:11], s[4:5]
	v_mul_f64 v[12:13], v[76:77], s[4:5]
	v_mul_f64 v[14:15], v[14:15], s[4:5]
	global_store_dwordx4 v[62:63], v[0:3], off
	global_store_dwordx4 v[64:65], v[4:7], off
	;; [unrolled: 1-line block ×4, first 2 shown]
	global_load_dwordx4 v[8:11], v162, s[8:9] offset:1280
	s_waitcnt vmcnt(10) lgkmcnt(0)
	v_mul_f64 v[78:79], v[42:43], v[22:23]
	v_mad_u64_u32 v[12:13], s[2:3], s0, v163, 0
	v_mov_b32_e32 v4, v13
	v_mad_u64_u32 v[4:5], s[2:3], s1, v163, v[4:5]
	v_mov_b32_e32 v13, v4
	ds_read_b128 v[4:7], v130 offset:640
	v_mul_f64 v[2:3], v[40:41], v[22:23]
	v_fmac_f64_e32 v[78:79], v[40:41], v[20:21]
	v_fma_f64 v[2:3], v[20:21], v[42:43], -v[2:3]
	v_mul_f64 v[0:1], v[78:79], s[4:5]
	v_mul_f64 v[2:3], v[2:3], s[4:5]
	v_lshl_add_u64 v[12:13], v[12:13], 4, v[60:61]
	global_store_dwordx4 v[12:13], v[0:3], off
	ds_read_b128 v[0:3], v130 offset:768
	s_waitcnt vmcnt(10) lgkmcnt(1)
	v_mul_f64 v[12:13], v[6:7], v[18:19]
	v_fmac_f64_e32 v[12:13], v[4:5], v[16:17]
	v_mul_f64 v[4:5], v[4:5], v[18:19]
	v_fma_f64 v[4:5], v[16:17], v[6:7], -v[4:5]
	v_mul_f64 v[14:15], v[4:5], s[4:5]
	v_mad_u64_u32 v[4:5], s[2:3], s0, v161, 0
	v_mov_b32_e32 v6, v5
	v_mad_u64_u32 v[6:7], s[2:3], s1, v161, v[6:7]
	v_mov_b32_e32 v5, v6
	v_mul_f64 v[12:13], v[12:13], s[4:5]
	v_lshl_add_u64 v[4:5], v[4:5], 4, v[60:61]
	global_store_dwordx4 v[4:5], v[12:15], off
	s_waitcnt vmcnt(10) lgkmcnt(0)
	v_mul_f64 v[4:5], v[2:3], v[46:47]
	v_fmac_f64_e32 v[4:5], v[0:1], v[44:45]
	v_mul_f64 v[0:1], v[0:1], v[46:47]
	v_fma_f64 v[0:1], v[44:45], v[2:3], -v[0:1]
	v_mad_u64_u32 v[12:13], s[2:3], s0, v160, 0
	v_mul_f64 v[6:7], v[0:1], s[4:5]
	v_mov_b32_e32 v0, v13
	v_mad_u64_u32 v[14:15], s[2:3], s1, v160, v[0:1]
	ds_read_b128 v[0:3], v130 offset:896
	v_mov_b32_e32 v13, v14
	v_mul_f64 v[4:5], v[4:5], s[4:5]
	v_lshl_add_u64 v[12:13], v[12:13], 4, v[60:61]
	global_store_dwordx4 v[12:13], v[4:7], off
	ds_read_b128 v[4:7], v130 offset:1024
	s_waitcnt vmcnt(10) lgkmcnt(1)
	v_mul_f64 v[12:13], v[2:3], v[50:51]
	v_fmac_f64_e32 v[12:13], v[0:1], v[48:49]
	v_mul_f64 v[0:1], v[0:1], v[50:51]
	v_fma_f64 v[0:1], v[48:49], v[2:3], -v[0:1]
	v_mul_f64 v[14:15], v[0:1], s[4:5]
	v_mad_u64_u32 v[0:1], s[2:3], s0, v159, 0
	v_mov_b32_e32 v2, v1
	v_mad_u64_u32 v[2:3], s[2:3], s1, v159, v[2:3]
	v_mov_b32_e32 v1, v2
	v_mul_f64 v[12:13], v[12:13], s[4:5]
	v_lshl_add_u64 v[0:1], v[0:1], 4, v[60:61]
	global_store_dwordx4 v[0:1], v[12:15], off
	s_waitcnt vmcnt(10) lgkmcnt(0)
	v_mul_f64 v[0:1], v[6:7], v[54:55]
	v_fmac_f64_e32 v[0:1], v[4:5], v[52:53]
	v_mad_u64_u32 v[12:13], s[2:3], s0, v158, 0
	v_mul_f64 v[2:3], v[4:5], v[54:55]
	v_mov_b32_e32 v4, v13
	v_mad_u64_u32 v[4:5], s[2:3], s1, v158, v[4:5]
	v_fma_f64 v[2:3], v[52:53], v[6:7], -v[2:3]
	v_mov_b32_e32 v13, v4
	ds_read_b128 v[4:7], v130 offset:1152
	v_mul_f64 v[0:1], v[0:1], s[4:5]
	v_mul_f64 v[2:3], v[2:3], s[4:5]
	v_lshl_add_u64 v[12:13], v[12:13], 4, v[60:61]
	global_store_dwordx4 v[12:13], v[0:3], off
	ds_read_b128 v[0:3], v130 offset:1280
	s_waitcnt vmcnt(10) lgkmcnt(1)
	v_mul_f64 v[12:13], v[6:7], v[58:59]
	v_fmac_f64_e32 v[12:13], v[4:5], v[56:57]
	v_mul_f64 v[4:5], v[4:5], v[58:59]
	v_or_b32_e32 v16, 0x48, v89
	v_fma_f64 v[4:5], v[56:57], v[6:7], -v[4:5]
	v_mul_f64 v[14:15], v[4:5], s[4:5]
	v_mad_u64_u32 v[4:5], s[2:3], s0, v16, 0
	v_mov_b32_e32 v6, v5
	v_mad_u64_u32 v[6:7], s[2:3], s1, v16, v[6:7]
	v_mov_b32_e32 v5, v6
	v_mul_f64 v[12:13], v[12:13], s[4:5]
	v_lshl_add_u64 v[4:5], v[4:5], 4, v[60:61]
	global_store_dwordx4 v[4:5], v[12:15], off
	s_waitcnt vmcnt(6) lgkmcnt(0)
	v_mul_f64 v[4:5], v[2:3], v[10:11]
	v_fmac_f64_e32 v[4:5], v[0:1], v[8:9]
	v_mul_f64 v[0:1], v[0:1], v[10:11]
	v_or_b32_e32 v12, 0x50, v89
	v_fma_f64 v[0:1], v[8:9], v[2:3], -v[0:1]
	v_mul_f64 v[6:7], v[0:1], s[4:5]
	v_mad_u64_u32 v[0:1], s[2:3], s0, v12, 0
	v_mov_b32_e32 v2, v1
	v_mad_u64_u32 v[2:3], s[0:1], s1, v12, v[2:3]
	v_mov_b32_e32 v1, v2
	v_mul_f64 v[4:5], v[4:5], s[4:5]
	v_lshl_add_u64 v[0:1], v[0:1], 4, v[60:61]
	global_store_dwordx4 v[0:1], v[4:7], off
.LBB0_15:
	s_endpgm
	.section	.rodata,"a",@progbits
	.p2align	6, 0x0
	.amdhsa_kernel bluestein_single_fwd_len88_dim1_dp_op_CI_CI
		.amdhsa_group_segment_fixed_size 15488
		.amdhsa_private_segment_fixed_size 0
		.amdhsa_kernarg_size 104
		.amdhsa_user_sgpr_count 2
		.amdhsa_user_sgpr_dispatch_ptr 0
		.amdhsa_user_sgpr_queue_ptr 0
		.amdhsa_user_sgpr_kernarg_segment_ptr 1
		.amdhsa_user_sgpr_dispatch_id 0
		.amdhsa_user_sgpr_kernarg_preload_length 0
		.amdhsa_user_sgpr_kernarg_preload_offset 0
		.amdhsa_user_sgpr_private_segment_size 0
		.amdhsa_uses_dynamic_stack 0
		.amdhsa_enable_private_segment 0
		.amdhsa_system_sgpr_workgroup_id_x 1
		.amdhsa_system_sgpr_workgroup_id_y 0
		.amdhsa_system_sgpr_workgroup_id_z 0
		.amdhsa_system_sgpr_workgroup_info 0
		.amdhsa_system_vgpr_workitem_id 0
		.amdhsa_next_free_vgpr 256
		.amdhsa_next_free_sgpr 42
		.amdhsa_accum_offset 256
		.amdhsa_reserve_vcc 1
		.amdhsa_float_round_mode_32 0
		.amdhsa_float_round_mode_16_64 0
		.amdhsa_float_denorm_mode_32 3
		.amdhsa_float_denorm_mode_16_64 3
		.amdhsa_dx10_clamp 1
		.amdhsa_ieee_mode 1
		.amdhsa_fp16_overflow 0
		.amdhsa_tg_split 0
		.amdhsa_exception_fp_ieee_invalid_op 0
		.amdhsa_exception_fp_denorm_src 0
		.amdhsa_exception_fp_ieee_div_zero 0
		.amdhsa_exception_fp_ieee_overflow 0
		.amdhsa_exception_fp_ieee_underflow 0
		.amdhsa_exception_fp_ieee_inexact 0
		.amdhsa_exception_int_div_zero 0
	.end_amdhsa_kernel
	.text
.Lfunc_end0:
	.size	bluestein_single_fwd_len88_dim1_dp_op_CI_CI, .Lfunc_end0-bluestein_single_fwd_len88_dim1_dp_op_CI_CI
                                        ; -- End function
	.section	.AMDGPU.csdata,"",@progbits
; Kernel info:
; codeLenInByte = 10376
; NumSgprs: 48
; NumVgprs: 256
; NumAgprs: 0
; TotalNumVgprs: 256
; ScratchSize: 0
; MemoryBound: 0
; FloatMode: 240
; IeeeMode: 1
; LDSByteSize: 15488 bytes/workgroup (compile time only)
; SGPRBlocks: 5
; VGPRBlocks: 31
; NumSGPRsForWavesPerEU: 48
; NumVGPRsForWavesPerEU: 256
; AccumOffset: 256
; Occupancy: 2
; WaveLimiterHint : 1
; COMPUTE_PGM_RSRC2:SCRATCH_EN: 0
; COMPUTE_PGM_RSRC2:USER_SGPR: 2
; COMPUTE_PGM_RSRC2:TRAP_HANDLER: 0
; COMPUTE_PGM_RSRC2:TGID_X_EN: 1
; COMPUTE_PGM_RSRC2:TGID_Y_EN: 0
; COMPUTE_PGM_RSRC2:TGID_Z_EN: 0
; COMPUTE_PGM_RSRC2:TIDIG_COMP_CNT: 0
; COMPUTE_PGM_RSRC3_GFX90A:ACCUM_OFFSET: 63
; COMPUTE_PGM_RSRC3_GFX90A:TG_SPLIT: 0
	.text
	.p2alignl 6, 3212836864
	.fill 256, 4, 3212836864
	.type	__hip_cuid_d72f4230d4e06b14,@object ; @__hip_cuid_d72f4230d4e06b14
	.section	.bss,"aw",@nobits
	.globl	__hip_cuid_d72f4230d4e06b14
__hip_cuid_d72f4230d4e06b14:
	.byte	0                               ; 0x0
	.size	__hip_cuid_d72f4230d4e06b14, 1

	.ident	"AMD clang version 19.0.0git (https://github.com/RadeonOpenCompute/llvm-project roc-6.4.0 25133 c7fe45cf4b819c5991fe208aaa96edf142730f1d)"
	.section	".note.GNU-stack","",@progbits
	.addrsig
	.addrsig_sym __hip_cuid_d72f4230d4e06b14
	.amdgpu_metadata
---
amdhsa.kernels:
  - .agpr_count:     0
    .args:
      - .actual_access:  read_only
        .address_space:  global
        .offset:         0
        .size:           8
        .value_kind:     global_buffer
      - .actual_access:  read_only
        .address_space:  global
        .offset:         8
        .size:           8
        .value_kind:     global_buffer
      - .actual_access:  read_only
        .address_space:  global
        .offset:         16
        .size:           8
        .value_kind:     global_buffer
      - .actual_access:  read_only
        .address_space:  global
        .offset:         24
        .size:           8
        .value_kind:     global_buffer
      - .actual_access:  read_only
        .address_space:  global
        .offset:         32
        .size:           8
        .value_kind:     global_buffer
      - .offset:         40
        .size:           8
        .value_kind:     by_value
      - .address_space:  global
        .offset:         48
        .size:           8
        .value_kind:     global_buffer
      - .address_space:  global
        .offset:         56
        .size:           8
        .value_kind:     global_buffer
      - .address_space:  global
        .offset:         64
        .size:           8
        .value_kind:     global_buffer
      - .address_space:  global
        .offset:         72
        .size:           8
        .value_kind:     global_buffer
      - .offset:         80
        .size:           4
        .value_kind:     by_value
      - .address_space:  global
        .offset:         88
        .size:           8
        .value_kind:     global_buffer
      - .address_space:  global
        .offset:         96
        .size:           8
        .value_kind:     global_buffer
    .group_segment_fixed_size: 15488
    .kernarg_segment_align: 8
    .kernarg_segment_size: 104
    .language:       OpenCL C
    .language_version:
      - 2
      - 0
    .max_flat_workgroup_size: 121
    .name:           bluestein_single_fwd_len88_dim1_dp_op_CI_CI
    .private_segment_fixed_size: 0
    .sgpr_count:     48
    .sgpr_spill_count: 0
    .symbol:         bluestein_single_fwd_len88_dim1_dp_op_CI_CI.kd
    .uniform_work_group_size: 1
    .uses_dynamic_stack: false
    .vgpr_count:     256
    .vgpr_spill_count: 0
    .wavefront_size: 64
amdhsa.target:   amdgcn-amd-amdhsa--gfx950
amdhsa.version:
  - 1
  - 2
...

	.end_amdgpu_metadata
